;; amdgpu-corpus repo=llvm/llvm-project kind=harvested arch=n/a opt=n/a
// NOTE: Assertions have been autogenerated by utils/update_mc_test_checks.py UTC_ARGS: --version 5
// RUN: llvm-mc -triple=amdgcn -show-encoding -mcpu=gfx1170 %s | FileCheck --check-prefixes=GFX1170 %s
// RUN: llvm-mc -triple=amdgcn -show-encoding -mcpu=gfx1170 %s | %extract-encodings | llvm-mc -triple=amdgcn -mcpu=gfx1170 -disassemble -show-encoding | FileCheck --strict-whitespace --check-prefixes=GFX1170 %s

v_pk_max_num_f16 v5, v1, v2
// GFX1170: v_pk_max_num_f16 v5, v1, v2             ; encoding: [0x05,0x40,0x12,0xcc,0x01,0x05,0x02,0x1a]

v_pk_max_num_f16 v5, v255, v255
// GFX1170: v_pk_max_num_f16 v5, v255, v255         ; encoding: [0x05,0x40,0x12,0xcc,0xff,0xff,0x03,0x1a]

v_pk_max_num_f16 v5, s1, s2
// GFX1170: v_pk_max_num_f16 v5, s1, s2             ; encoding: [0x05,0x40,0x12,0xcc,0x01,0x04,0x00,0x1a]

v_pk_max_num_f16 v5, s105, s105
// GFX1170: v_pk_max_num_f16 v5, s105, s105         ; encoding: [0x05,0x40,0x12,0xcc,0x69,0xd2,0x00,0x1a]

v_pk_max_num_f16 v5, vcc_lo, ttmp15
// GFX1170: v_pk_max_num_f16 v5, vcc_lo, ttmp15     ; encoding: [0x05,0x40,0x12,0xcc,0x6a,0xf6,0x00,0x1a]

v_pk_max_num_f16 v5, vcc_hi, 0xfe0b
// GFX1170: v_pk_max_num_f16 v5, vcc_hi, 0xfe0b     ; encoding: [0x05,0x40,0x12,0xcc,0x6b,0xfe,0x01,0x1a,0x0b,0xfe,0x00,0x00]

v_pk_max_num_f16 v5, ttmp15, src_scc
// GFX1170: v_pk_max_num_f16 v5, ttmp15, src_scc    ; encoding: [0x05,0x40,0x12,0xcc,0x7b,0xfa,0x01,0x1a]

v_pk_max_num_f16 v5, m0, 0.5
// GFX1170: v_pk_max_num_f16 v5, m0, 0.5            ; encoding: [0x05,0x40,0x12,0xcc,0x7d,0xe0,0x01,0x1a]

v_pk_max_num_f16 v5, exec_lo, -1
// GFX1170: v_pk_max_num_f16 v5, exec_lo, -1        ; encoding: [0x05,0x40,0x12,0xcc,0x7e,0x82,0x01,0x1a]

v_pk_max_num_f16 v5, exec_hi, null
// GFX1170: v_pk_max_num_f16 v5, exec_hi, null      ; encoding: [0x05,0x40,0x12,0xcc,0x7f,0xf8,0x00,0x1a]

v_pk_max_num_f16 v5, null, exec_lo
// GFX1170: v_pk_max_num_f16 v5, null, exec_lo      ; encoding: [0x05,0x40,0x12,0xcc,0x7c,0xfc,0x00,0x1a]

v_pk_max_num_f16 v5, -1, exec_hi op_sel:[1,1] op_sel_hi:[0,0] neg_lo:[1,0] neg_hi:[1,0]
// GFX1170: v_pk_max_num_f16 v5, -1, exec_hi op_sel:[1,1] op_sel_hi:[0,0] neg_lo:[1,0] neg_hi:[1,0] ; encoding: [0x05,0x59,0x12,0xcc,0xc1,0xfe,0x00,0x22]

v_pk_max_num_f16 v5, 0.5, m0 op_sel:[0,0] op_sel_hi:[1,1] neg_lo:[0,1] neg_hi:[0,1]
// GFX1170: v_pk_max_num_f16 v5, 0.5, m0 neg_lo:[0,1] neg_hi:[0,1] ; encoding: [0x05,0x42,0x12,0xcc,0xf0,0xfa,0x00,0x5a]

v_pk_max_num_f16 v5, src_scc, vcc_lo op_sel:[1,0] op_sel_hi:[0,1] neg_lo:[0,0] neg_hi:[0,0]
// GFX1170: v_pk_max_num_f16 v5, src_scc, vcc_lo op_sel:[1,0] op_sel_hi:[0,1] ; encoding: [0x05,0x48,0x12,0xcc,0xfd,0xd4,0x00,0x12]

v_pk_max_num_f16 v255, 0xfe0b, vcc_hi op_sel:[0,1] op_sel_hi:[1,0] neg_lo:[1,1] neg_hi:[1,1] clamp
// GFX1170: v_pk_max_num_f16 v255, 0xfe0b, vcc_hi op_sel:[0,1] op_sel_hi:[1,0] neg_lo:[1,1] neg_hi:[1,1] clamp ; encoding: [0xff,0xd3,0x12,0xcc,0xff,0xd6,0x00,0x6a,0x0b,0xfe,0x00,0x00]

v_pk_min_num_f16 v5, v1, v2
// GFX1170: v_pk_min_num_f16 v5, v1, v2             ; encoding: [0x05,0x40,0x11,0xcc,0x01,0x05,0x02,0x1a]

v_pk_min_num_f16 v5, v255, v255
// GFX1170: v_pk_min_num_f16 v5, v255, v255         ; encoding: [0x05,0x40,0x11,0xcc,0xff,0xff,0x03,0x1a]

v_pk_min_num_f16 v5, s1, s2
// GFX1170: v_pk_min_num_f16 v5, s1, s2             ; encoding: [0x05,0x40,0x11,0xcc,0x01,0x04,0x00,0x1a]

v_pk_min_num_f16 v5, s105, s105
// GFX1170: v_pk_min_num_f16 v5, s105, s105         ; encoding: [0x05,0x40,0x11,0xcc,0x69,0xd2,0x00,0x1a]

v_pk_min_num_f16 v5, vcc_lo, ttmp15
// GFX1170: v_pk_min_num_f16 v5, vcc_lo, ttmp15     ; encoding: [0x05,0x40,0x11,0xcc,0x6a,0xf6,0x00,0x1a]

v_pk_min_num_f16 v5, vcc_hi, 0xfe0b
// GFX1170: v_pk_min_num_f16 v5, vcc_hi, 0xfe0b     ; encoding: [0x05,0x40,0x11,0xcc,0x6b,0xfe,0x01,0x1a,0x0b,0xfe,0x00,0x00]

v_pk_min_num_f16 v5, ttmp15, src_scc
// GFX1170: v_pk_min_num_f16 v5, ttmp15, src_scc    ; encoding: [0x05,0x40,0x11,0xcc,0x7b,0xfa,0x01,0x1a]

v_pk_min_num_f16 v5, m0, 0.5
// GFX1170: v_pk_min_num_f16 v5, m0, 0.5            ; encoding: [0x05,0x40,0x11,0xcc,0x7d,0xe0,0x01,0x1a]

v_pk_min_num_f16 v5, exec_lo, -1
// GFX1170: v_pk_min_num_f16 v5, exec_lo, -1        ; encoding: [0x05,0x40,0x11,0xcc,0x7e,0x82,0x01,0x1a]

v_pk_min_num_f16 v5, exec_hi, null
// GFX1170: v_pk_min_num_f16 v5, exec_hi, null      ; encoding: [0x05,0x40,0x11,0xcc,0x7f,0xf8,0x00,0x1a]

v_pk_min_num_f16 v5, null, exec_lo
// GFX1170: v_pk_min_num_f16 v5, null, exec_lo      ; encoding: [0x05,0x40,0x11,0xcc,0x7c,0xfc,0x00,0x1a]

v_pk_min_num_f16 v5, -1, exec_hi op_sel:[1,1] op_sel_hi:[0,0] neg_lo:[1,0] neg_hi:[1,0]
// GFX1170: v_pk_min_num_f16 v5, -1, exec_hi op_sel:[1,1] op_sel_hi:[0,0] neg_lo:[1,0] neg_hi:[1,0] ; encoding: [0x05,0x59,0x11,0xcc,0xc1,0xfe,0x00,0x22]

v_pk_min_num_f16 v5, 0.5, m0 op_sel:[0,0] op_sel_hi:[1,1] neg_lo:[0,1] neg_hi:[0,1]
// GFX1170: v_pk_min_num_f16 v5, 0.5, m0 neg_lo:[0,1] neg_hi:[0,1] ; encoding: [0x05,0x42,0x11,0xcc,0xf0,0xfa,0x00,0x5a]

v_pk_min_num_f16 v5, src_scc, vcc_lo op_sel:[1,0] op_sel_hi:[0,1] neg_lo:[0,0] neg_hi:[0,0]
// GFX1170: v_pk_min_num_f16 v5, src_scc, vcc_lo op_sel:[1,0] op_sel_hi:[0,1] ; encoding: [0x05,0x48,0x11,0xcc,0xfd,0xd4,0x00,0x12]

v_pk_min_num_f16 v255, 0xfe0b, vcc_hi op_sel:[0,1] op_sel_hi:[1,0] neg_lo:[1,1] neg_hi:[1,1] clamp
// GFX1170: v_pk_min_num_f16 v255, 0xfe0b, vcc_hi op_sel:[0,1] op_sel_hi:[1,0] neg_lo:[1,1] neg_hi:[1,1] clamp ; encoding: [0xff,0xd3,0x11,0xcc,0xff,0xd6,0x00,0x6a,0x0b,0xfe,0x00,0x00]

v_pk_minimum_f16 v5, v1, v2
// GFX1170: v_pk_minimum_f16 v5, v1, v2             ; encoding: [0x05,0x40,0x1d,0xcc,0x01,0x05,0x02,0x1a]

v_pk_minimum_f16 v5, v255, v255
// GFX1170: v_pk_minimum_f16 v5, v255, v255         ; encoding: [0x05,0x40,0x1d,0xcc,0xff,0xff,0x03,0x1a]

v_pk_minimum_f16 v5, s1, s2
// GFX1170: v_pk_minimum_f16 v5, s1, s2             ; encoding: [0x05,0x40,0x1d,0xcc,0x01,0x04,0x00,0x1a]

v_pk_minimum_f16 v5, s105, s105
// GFX1170: v_pk_minimum_f16 v5, s105, s105         ; encoding: [0x05,0x40,0x1d,0xcc,0x69,0xd2,0x00,0x1a]

v_pk_minimum_f16 v5, vcc_lo, ttmp15
// GFX1170: v_pk_minimum_f16 v5, vcc_lo, ttmp15     ; encoding: [0x05,0x40,0x1d,0xcc,0x6a,0xf6,0x00,0x1a]

v_pk_minimum_f16 v5, vcc_hi, 0xfe0b
// GFX1170: v_pk_minimum_f16 v5, vcc_hi, 0xfe0b     ; encoding: [0x05,0x40,0x1d,0xcc,0x6b,0xfe,0x01,0x1a,0x0b,0xfe,0x00,0x00]

v_pk_minimum_f16 v5, ttmp15, src_scc
// GFX1170: v_pk_minimum_f16 v5, ttmp15, src_scc    ; encoding: [0x05,0x40,0x1d,0xcc,0x7b,0xfa,0x01,0x1a]

v_pk_minimum_f16 v5, m0, 0.5
// GFX1170: v_pk_minimum_f16 v5, m0, 0.5            ; encoding: [0x05,0x40,0x1d,0xcc,0x7d,0xe0,0x01,0x1a]

v_pk_minimum_f16 v5, exec_lo, -1
// GFX1170: v_pk_minimum_f16 v5, exec_lo, -1        ; encoding: [0x05,0x40,0x1d,0xcc,0x7e,0x82,0x01,0x1a]

v_pk_minimum_f16 v5, exec_hi, null
// GFX1170: v_pk_minimum_f16 v5, exec_hi, null      ; encoding: [0x05,0x40,0x1d,0xcc,0x7f,0xf8,0x00,0x1a]

v_pk_minimum_f16 v5, null, exec_lo
// GFX1170: v_pk_minimum_f16 v5, null, exec_lo      ; encoding: [0x05,0x40,0x1d,0xcc,0x7c,0xfc,0x00,0x1a]

v_pk_minimum_f16 v5, -1, exec_hi op_sel:[1,1] op_sel_hi:[0,0] neg_lo:[1,0] neg_hi:[1,0]
// GFX1170: v_pk_minimum_f16 v5, -1, exec_hi op_sel:[1,1] op_sel_hi:[0,0] neg_lo:[1,0] neg_hi:[1,0] ; encoding: [0x05,0x59,0x1d,0xcc,0xc1,0xfe,0x00,0x22]

v_pk_minimum_f16 v5, 0.5, m0 op_sel:[0,0] op_sel_hi:[1,1] neg_lo:[0,1] neg_hi:[0,1]
// GFX1170: v_pk_minimum_f16 v5, 0.5, m0 neg_lo:[0,1] neg_hi:[0,1] ; encoding: [0x05,0x42,0x1d,0xcc,0xf0,0xfa,0x00,0x5a]

v_pk_minimum_f16 v5, src_scc, vcc_lo op_sel:[1,0] op_sel_hi:[0,1] neg_lo:[0,0] neg_hi:[0,0]
// GFX1170: v_pk_minimum_f16 v5, src_scc, vcc_lo op_sel:[1,0] op_sel_hi:[0,1] ; encoding: [0x05,0x48,0x1d,0xcc,0xfd,0xd4,0x00,0x12]

v_pk_minimum_f16 v255, 0xfe0b, vcc_hi op_sel:[0,1] op_sel_hi:[1,0] neg_lo:[1,1] neg_hi:[1,1] clamp
// GFX1170: v_pk_minimum_f16 v255, 0xfe0b, vcc_hi op_sel:[0,1] op_sel_hi:[1,0] neg_lo:[1,1] neg_hi:[1,1] clamp ; encoding: [0xff,0xd3,0x1d,0xcc,0xff,0xd6,0x00,0x6a,0x0b,0xfe,0x00,0x00]

v_pk_maximum_f16 v5, v1, v2
// GFX1170: v_pk_maximum_f16 v5, v1, v2             ; encoding: [0x05,0x40,0x1e,0xcc,0x01,0x05,0x02,0x1a]

v_pk_maximum_f16 v5, v255, v255
// GFX1170: v_pk_maximum_f16 v5, v255, v255         ; encoding: [0x05,0x40,0x1e,0xcc,0xff,0xff,0x03,0x1a]

v_pk_maximum_f16 v5, s1, s2
// GFX1170: v_pk_maximum_f16 v5, s1, s2             ; encoding: [0x05,0x40,0x1e,0xcc,0x01,0x04,0x00,0x1a]

v_pk_maximum_f16 v5, s105, s105
// GFX1170: v_pk_maximum_f16 v5, s105, s105         ; encoding: [0x05,0x40,0x1e,0xcc,0x69,0xd2,0x00,0x1a]

v_pk_maximum_f16 v5, vcc_lo, ttmp15
// GFX1170: v_pk_maximum_f16 v5, vcc_lo, ttmp15     ; encoding: [0x05,0x40,0x1e,0xcc,0x6a,0xf6,0x00,0x1a]

v_pk_maximum_f16 v5, vcc_hi, 0xfe0b
// GFX1170: v_pk_maximum_f16 v5, vcc_hi, 0xfe0b     ; encoding: [0x05,0x40,0x1e,0xcc,0x6b,0xfe,0x01,0x1a,0x0b,0xfe,0x00,0x00]

v_pk_maximum_f16 v5, ttmp15, src_scc
// GFX1170: v_pk_maximum_f16 v5, ttmp15, src_scc    ; encoding: [0x05,0x40,0x1e,0xcc,0x7b,0xfa,0x01,0x1a]

v_pk_maximum_f16 v5, m0, 0.5
// GFX1170: v_pk_maximum_f16 v5, m0, 0.5            ; encoding: [0x05,0x40,0x1e,0xcc,0x7d,0xe0,0x01,0x1a]

v_pk_maximum_f16 v5, exec_lo, -1
// GFX1170: v_pk_maximum_f16 v5, exec_lo, -1        ; encoding: [0x05,0x40,0x1e,0xcc,0x7e,0x82,0x01,0x1a]

v_pk_maximum_f16 v5, exec_hi, null
// GFX1170: v_pk_maximum_f16 v5, exec_hi, null      ; encoding: [0x05,0x40,0x1e,0xcc,0x7f,0xf8,0x00,0x1a]

v_pk_maximum_f16 v5, null, exec_lo
// GFX1170: v_pk_maximum_f16 v5, null, exec_lo      ; encoding: [0x05,0x40,0x1e,0xcc,0x7c,0xfc,0x00,0x1a]

v_pk_maximum_f16 v5, -1, exec_hi op_sel:[1,1] op_sel_hi:[0,0] neg_lo:[1,0] neg_hi:[1,0]
// GFX1170: v_pk_maximum_f16 v5, -1, exec_hi op_sel:[1,1] op_sel_hi:[0,0] neg_lo:[1,0] neg_hi:[1,0] ; encoding: [0x05,0x59,0x1e,0xcc,0xc1,0xfe,0x00,0x22]

v_pk_maximum_f16 v5, 0.5, m0 op_sel:[0,0] op_sel_hi:[1,1] neg_lo:[0,1] neg_hi:[0,1]
// GFX1170: v_pk_maximum_f16 v5, 0.5, m0 neg_lo:[0,1] neg_hi:[0,1] ; encoding: [0x05,0x42,0x1e,0xcc,0xf0,0xfa,0x00,0x5a]

v_pk_maximum_f16 v5, src_scc, vcc_lo op_sel:[1,0] op_sel_hi:[0,1] neg_lo:[0,0] neg_hi:[0,0]
// GFX1170: v_pk_maximum_f16 v5, src_scc, vcc_lo op_sel:[1,0] op_sel_hi:[0,1] ; encoding: [0x05,0x48,0x1e,0xcc,0xfd,0xd4,0x00,0x12]

v_pk_maximum_f16 v255, 0xfe0b, vcc_hi op_sel:[0,1] op_sel_hi:[1,0] neg_lo:[1,1] neg_hi:[1,1] clamp
// GFX1170: v_pk_maximum_f16 v255, 0xfe0b, vcc_hi op_sel:[0,1] op_sel_hi:[1,0] neg_lo:[1,1] neg_hi:[1,1] clamp ; encoding: [0xff,0xd3,0x1e,0xcc,0xff,0xd6,0x00,0x6a,0x0b,0xfe,0x00,0x00]

v_dot4_f32_fp8_bf8 v0, v1, v2, v3
// GFX1170: v_dot4_f32_fp8_bf8 v0, v1, v2, v3       ; encoding: [0x00,0x40,0x24,0xcc,0x01,0x05,0x0e,0x1c]

v_dot4_f32_fp8_bf8 v0, v1, v2, v3 neg_lo:[0,0,1]
// GFX1170: v_dot4_f32_fp8_bf8 v0, v1, v2, v3 neg_lo:[0,0,1] ; encoding: [0x00,0x40,0x24,0xcc,0x01,0x05,0x0e,0x9c]

v_dot4_f32_fp8_bf8 v0, v1, v2, v3 neg_hi:[0,0,1]
// GFX1170: v_dot4_f32_fp8_bf8 v0, v1, v2, v3 neg_hi:[0,0,1] ; encoding: [0x00,0x44,0x24,0xcc,0x01,0x05,0x0e,0x1c]

v_dot4_f32_fp8_bf8 v0, s0, v2, v3
// GFX1170: v_dot4_f32_fp8_bf8 v0, s0, v2, v3       ; encoding: [0x00,0x40,0x24,0xcc,0x00,0x04,0x0e,0x1c]

v_dot4_f32_fp8_bf8 v0, v1, s0, v3
// GFX1170: v_dot4_f32_fp8_bf8 v0, v1, s0, v3       ; encoding: [0x00,0x40,0x24,0xcc,0x01,0x01,0x0c,0x1c]

v_dot4_f32_fp8_bf8 v0, v1, v2, s0
// GFX1170: v_dot4_f32_fp8_bf8 v0, v1, v2, s0       ; encoding: [0x00,0x40,0x24,0xcc,0x01,0x05,0x02,0x18]

v_dot4_f32_fp8_bf8 v0, 1.0, v2, v3
// GFX1170: v_dot4_f32_fp8_bf8 v0, 1.0, v2, v3      ; encoding: [0x00,0x40,0x24,0xcc,0xf2,0x04,0x0e,0x1c]

v_dot4_f32_fp8_bf8 v0, v1, 1.0, v3
// GFX1170: v_dot4_f32_fp8_bf8 v0, v1, 1.0, v3      ; encoding: [0x00,0x40,0x24,0xcc,0x01,0xe5,0x0d,0x1c]

v_dot4_f32_fp8_bf8 v0, v1, v2, 1.0
// GFX1170: v_dot4_f32_fp8_bf8 v0, v1, v2, 1.0      ; encoding: [0x00,0x40,0x24,0xcc,0x01,0x05,0xca,0x1b]

v_dot4_f32_fp8_bf8 v0, v1, v2, 1
// GFX1170: v_dot4_f32_fp8_bf8 v0, v1, v2, 1        ; encoding: [0x00,0x40,0x24,0xcc,0x01,0x05,0x06,0x1a]

v_dot4_f32_bf8_fp8 v0, v1, v2, v3
// GFX1170: v_dot4_f32_bf8_fp8 v0, v1, v2, v3       ; encoding: [0x00,0x40,0x25,0xcc,0x01,0x05,0x0e,0x1c]

v_dot4_f32_bf8_fp8 v0, v1, v2, v3 neg_lo:[0,0,1]
// GFX1170: v_dot4_f32_bf8_fp8 v0, v1, v2, v3 neg_lo:[0,0,1] ; encoding: [0x00,0x40,0x25,0xcc,0x01,0x05,0x0e,0x9c]

v_dot4_f32_bf8_fp8 v0, v1, v2, v3 neg_hi:[0,0,1]
// GFX1170: v_dot4_f32_bf8_fp8 v0, v1, v2, v3 neg_hi:[0,0,1] ; encoding: [0x00,0x44,0x25,0xcc,0x01,0x05,0x0e,0x1c]

v_dot4_f32_bf8_fp8 v0, s0, v2, v3
// GFX1170: v_dot4_f32_bf8_fp8 v0, s0, v2, v3       ; encoding: [0x00,0x40,0x25,0xcc,0x00,0x04,0x0e,0x1c]

v_dot4_f32_bf8_fp8 v0, v1, s0, v3
// GFX1170: v_dot4_f32_bf8_fp8 v0, v1, s0, v3       ; encoding: [0x00,0x40,0x25,0xcc,0x01,0x01,0x0c,0x1c]
	;; [unrolled: 3-line block ×3, first 2 shown]

v_dot4_f32_bf8_fp8 v0, 1.0, v2, v3
// GFX1170: v_dot4_f32_bf8_fp8 v0, 1.0, v2, v3      ; encoding: [0x00,0x40,0x25,0xcc,0xf2,0x04,0x0e,0x1c]

v_dot4_f32_bf8_fp8 v0, v1, 1.0, v3
// GFX1170: v_dot4_f32_bf8_fp8 v0, v1, 1.0, v3      ; encoding: [0x00,0x40,0x25,0xcc,0x01,0xe5,0x0d,0x1c]

v_dot4_f32_bf8_fp8 v0, v1, v2, 1.0
// GFX1170: v_dot4_f32_bf8_fp8 v0, v1, v2, 1.0      ; encoding: [0x00,0x40,0x25,0xcc,0x01,0x05,0xca,0x1b]

v_dot4_f32_bf8_fp8 v0, v1, v2, 1
// GFX1170: v_dot4_f32_bf8_fp8 v0, v1, v2, 1        ; encoding: [0x00,0x40,0x25,0xcc,0x01,0x05,0x06,0x1a]

v_dot4_f32_fp8_fp8 v0, v1, v2, v3
// GFX1170: v_dot4_f32_fp8_fp8 v0, v1, v2, v3       ; encoding: [0x00,0x40,0x26,0xcc,0x01,0x05,0x0e,0x1c]

v_dot4_f32_fp8_fp8 v0, v1, v2, v3 neg_lo:[0,0,1]
// GFX1170: v_dot4_f32_fp8_fp8 v0, v1, v2, v3 neg_lo:[0,0,1] ; encoding: [0x00,0x40,0x26,0xcc,0x01,0x05,0x0e,0x9c]

v_dot4_f32_fp8_fp8 v0, v1, v2, v3 neg_hi:[0,0,1]
// GFX1170: v_dot4_f32_fp8_fp8 v0, v1, v2, v3 neg_hi:[0,0,1] ; encoding: [0x00,0x44,0x26,0xcc,0x01,0x05,0x0e,0x1c]

v_dot4_f32_fp8_fp8 v0, s0, v2, v3
// GFX1170: v_dot4_f32_fp8_fp8 v0, s0, v2, v3       ; encoding: [0x00,0x40,0x26,0xcc,0x00,0x04,0x0e,0x1c]

v_dot4_f32_fp8_fp8 v0, v1, s0, v3
// GFX1170: v_dot4_f32_fp8_fp8 v0, v1, s0, v3       ; encoding: [0x00,0x40,0x26,0xcc,0x01,0x01,0x0c,0x1c]
	;; [unrolled: 3-line block ×3, first 2 shown]

v_dot4_f32_fp8_fp8 v0, 1.0, v2, v3
// GFX1170: v_dot4_f32_fp8_fp8 v0, 1.0, v2, v3      ; encoding: [0x00,0x40,0x26,0xcc,0xf2,0x04,0x0e,0x1c]

v_dot4_f32_fp8_fp8 v0, v1, 1.0, v3
// GFX1170: v_dot4_f32_fp8_fp8 v0, v1, 1.0, v3      ; encoding: [0x00,0x40,0x26,0xcc,0x01,0xe5,0x0d,0x1c]

v_dot4_f32_fp8_fp8 v0, v1, v2, 1.0
// GFX1170: v_dot4_f32_fp8_fp8 v0, v1, v2, 1.0      ; encoding: [0x00,0x40,0x26,0xcc,0x01,0x05,0xca,0x1b]

v_dot4_f32_fp8_fp8 v0, v1, v2, 1
// GFX1170: v_dot4_f32_fp8_fp8 v0, v1, v2, 1        ; encoding: [0x00,0x40,0x26,0xcc,0x01,0x05,0x06,0x1a]

v_dot4_f32_bf8_bf8 v0, v1, v2, v3
// GFX1170: v_dot4_f32_bf8_bf8 v0, v1, v2, v3       ; encoding: [0x00,0x40,0x27,0xcc,0x01,0x05,0x0e,0x1c]

v_dot4_f32_bf8_bf8 v0, v1, v2, v3 neg_lo:[0,0,1]
// GFX1170: v_dot4_f32_bf8_bf8 v0, v1, v2, v3 neg_lo:[0,0,1] ; encoding: [0x00,0x40,0x27,0xcc,0x01,0x05,0x0e,0x9c]

v_dot4_f32_bf8_bf8 v0, v1, v2, v3 neg_hi:[0,0,1]
// GFX1170: v_dot4_f32_bf8_bf8 v0, v1, v2, v3 neg_hi:[0,0,1] ; encoding: [0x00,0x44,0x27,0xcc,0x01,0x05,0x0e,0x1c]

v_dot4_f32_bf8_bf8 v0, s0, v2, v3
// GFX1170: v_dot4_f32_bf8_bf8 v0, s0, v2, v3       ; encoding: [0x00,0x40,0x27,0xcc,0x00,0x04,0x0e,0x1c]

v_dot4_f32_bf8_bf8 v0, v1, s0, v3
// GFX1170: v_dot4_f32_bf8_bf8 v0, v1, s0, v3       ; encoding: [0x00,0x40,0x27,0xcc,0x01,0x01,0x0c,0x1c]
	;; [unrolled: 3-line block ×3, first 2 shown]

v_dot4_f32_bf8_bf8 v0, 1.0, v2, v3
// GFX1170: v_dot4_f32_bf8_bf8 v0, 1.0, v2, v3      ; encoding: [0x00,0x40,0x27,0xcc,0xf2,0x04,0x0e,0x1c]

v_dot4_f32_bf8_bf8 v0, v1, 1.0, v3
// GFX1170: v_dot4_f32_bf8_bf8 v0, v1, 1.0, v3      ; encoding: [0x00,0x40,0x27,0xcc,0x01,0xe5,0x0d,0x1c]

v_dot4_f32_bf8_bf8 v0, v1, v2, 1.0
// GFX1170: v_dot4_f32_bf8_bf8 v0, v1, v2, 1.0      ; encoding: [0x00,0x40,0x27,0xcc,0x01,0x05,0xca,0x1b]

v_dot4_f32_bf8_bf8 v0, v1, v2, 1
// GFX1170: v_dot4_f32_bf8_bf8 v0, v1, v2, 1        ; encoding: [0x00,0x40,0x27,0xcc,0x01,0x05,0x06,0x1a]
